;; amdgpu-corpus repo=triton-lang/triton kind=triton arch=gfx950 opt=O3 lang=triton
	.amdgcn_target "amdgcn-amd-amdhsa--gfx950"
	.amdhsa_code_object_version 5
	.text
	.globl	_layer_norm_bwd_dx_fused        ; -- Begin function _layer_norm_bwd_dx_fused
	.p2align	8
	.type	_layer_norm_bwd_dx_fused,@function
_layer_norm_bwd_dx_fused:               ; @_layer_norm_bwd_dx_fused
.Lfunc_begin0:
	.cfi_sections .debug_frame
	.cfi_startproc
; %bb.25:
	.file	1 "/root/src/amdgpu-assembly/repos/triton-lang__triton-aot" "layer_norm_bwd.py"
	.loc	1 8 0 prologue_end              ; layer_norm_bwd.py:8:0
	s_load_dwordx2 s[2:3], s[0:1], 0x0
	s_load_dwordx8 s[4:11], s[0:1], 0x8
	s_load_dwordx4 s[12:15], s[0:1], 0x28
	s_waitcnt lgkmcnt(0)
	s_branch .LBB0_0
	.loc	1 0 0 is_stmt 0                 ; :0:0
.Ltmp0:
	.p2align	8
; %bb.26:
.LBB0_0:
	s_load_dwordx2 s[30:31], s[0:1], 0x48
	s_mov_b64 s[18:19], s[14:15]
.Ltmp1:
	.loc	1 69 25 is_stmt 1               ; layer_norm_bwd.py:69:25
	v_readfirstlane_b32 s33, v0
	.loc	1 22 24                         ; layer_norm_bwd.py:22:24
	s_and_b32 s17, s33, 0xc0
	v_and_b32_e32 v26, 63, v0
	.loc	1 24 15                         ; layer_norm_bwd.py:24:15
	s_waitcnt lgkmcnt(0)
	s_mul_i32 s14, s30, s16
	.loc	1 24 9 is_stmt 0                ; layer_norm_bwd.py:24:9
	s_ashr_i32 s15, s14, 31
	s_lshl_b64 s[34:35], s[14:15], 1
	s_add_u32 s40, s10, s34
	s_addc_u32 s10, s11, s35
	.loc	1 25 10 is_stmt 1               ; layer_norm_bwd.py:25:10
	s_add_u32 s36, s4, s34
	.loc	1 22 24                         ; layer_norm_bwd.py:22:24
	v_or_b32_e32 v1, s17, v26
	.loc	1 25 10                         ; layer_norm_bwd.py:25:10
	s_addc_u32 s4, s5, s35
	.loc	1 22 24                         ; layer_norm_bwd.py:22:24
	v_or_b32_e32 v2, 0x100, v1
	.loc	1 34 16                         ; layer_norm_bwd.py:34:16
	v_lshlrev_b32_e32 v3, 1, v1
	v_bfrev_b32_e32 v4, 1
	.loc	1 23 18                         ; layer_norm_bwd.py:23:18
	v_cmp_gt_i32_e32 vcc, s31, v1
	.loc	1 34 16                         ; layer_norm_bwd.py:34:16
	s_and_b32 s41, s10, 0xffff
	s_mov_b32 s43, 0x27000
	s_mov_b32 s42, 0x7ffffffe
	.loc	1 35 17                         ; layer_norm_bwd.py:35:17
	s_and_b32 s37, s4, 0xffff
	.loc	1 34 16                         ; layer_norm_bwd.py:34:16
	v_cndmask_b32_e32 v27, v4, v3, vcc
	v_lshlrev_b32_e32 v3, 1, v2
	.loc	1 23 18                         ; layer_norm_bwd.py:23:18
	v_cmp_gt_i32_e64 s[4:5], s31, v2
	.loc	1 35 17                         ; layer_norm_bwd.py:35:17
	s_mov_b32 s38, s42
	s_mov_b32 s39, s43
	.loc	1 34 16                         ; layer_norm_bwd.py:34:16
	v_cndmask_b32_e64 v28, v4, v3, s[4:5]
	buffer_load_ushort v3, v27, s[40:43], 0 offen
	buffer_load_ushort v5, v28, s[40:43], 0 offen
	.loc	1 35 17                         ; layer_norm_bwd.py:35:17
	buffer_load_ushort v6, v27, s[36:39], 0 offen
	buffer_load_ushort v7, v28, s[36:39], 0 offen
	.loc	1 36 16                         ; layer_norm_bwd.py:36:16
	v_lshlrev_b32_e32 v8, 2, v1
	v_cndmask_b32_e32 v32, v4, v8, vcc
	v_lshlrev_b32_e32 v2, 2, v2
	.loc	1 22 24                         ; layer_norm_bwd.py:22:24
	v_or_b32_e32 v8, 0x200, v1
	.loc	1 36 16                         ; layer_norm_bwd.py:36:16
	v_cndmask_b32_e64 v33, v4, v2, s[4:5]
	.loc	1 22 24                         ; layer_norm_bwd.py:22:24
	v_or_b32_e32 v2, 0x300, v1
	.loc	1 34 16                         ; layer_norm_bwd.py:34:16
	v_lshlrev_b32_e32 v9, 1, v8
	.loc	1 23 18                         ; layer_norm_bwd.py:23:18
	v_cmp_gt_i32_e64 s[10:11], s31, v8
	.loc	1 36 16                         ; layer_norm_bwd.py:36:16
	v_lshlrev_b32_e32 v8, 2, v8
	.loc	1 23 18                         ; layer_norm_bwd.py:23:18
	v_cmp_gt_i32_e64 s[20:21], s31, v2
	.loc	1 34 16                         ; layer_norm_bwd.py:34:16
	v_cndmask_b32_e64 v29, v4, v9, s[10:11]
	v_lshlrev_b32_e32 v9, 1, v2
	.loc	1 36 16                         ; layer_norm_bwd.py:36:16
	v_cndmask_b32_e64 v34, v4, v8, s[10:11]
	v_lshlrev_b32_e32 v2, 2, v2
	.loc	1 22 24                         ; layer_norm_bwd.py:22:24
	v_or_b32_e32 v8, 0x400, v1
	.loc	1 34 16                         ; layer_norm_bwd.py:34:16
	v_cndmask_b32_e64 v30, v4, v9, s[20:21]
	.loc	1 36 16                         ; layer_norm_bwd.py:36:16
	v_cndmask_b32_e64 v35, v4, v2, s[20:21]
	.loc	1 22 24                         ; layer_norm_bwd.py:22:24
	v_or_b32_e32 v2, 0x500, v1
	.loc	1 34 16                         ; layer_norm_bwd.py:34:16
	v_lshlrev_b32_e32 v9, 1, v8
	.loc	1 23 18                         ; layer_norm_bwd.py:23:18
	v_cmp_gt_i32_e64 s[22:23], s31, v8
	.loc	1 22 24                         ; layer_norm_bwd.py:22:24
	v_or_b32_e32 v11, 0x700, v1
	v_or_b32_e32 v1, 0x600, v1
	.loc	1 34 16                         ; layer_norm_bwd.py:34:16
	v_cndmask_b32_e64 v31, v4, v9, s[22:23]
	v_lshlrev_b32_e32 v9, 1, v2
	.loc	1 23 18                         ; layer_norm_bwd.py:23:18
	v_cmp_gt_i32_e64 s[24:25], s31, v2
	.loc	1 34 16                         ; layer_norm_bwd.py:34:16
	v_lshlrev_b32_e32 v18, 1, v1
	.loc	1 23 18                         ; layer_norm_bwd.py:23:18
	v_cmp_gt_i32_e64 s[26:27], s31, v1
	.loc	1 34 16                         ; layer_norm_bwd.py:34:16
	v_cndmask_b32_e64 v40, v4, v9, s[24:25]
	buffer_load_ushort v9, v29, s[40:43], 0 offen
	buffer_load_ushort v10, v30, s[40:43], 0 offen
	;; [unrolled: 1-line block ×4, first 2 shown]
	.loc	1 35 17                         ; layer_norm_bwd.py:35:17
	buffer_load_ushort v13, v30, s[36:39], 0 offen
	buffer_load_ushort v15, v29, s[36:39], 0 offen
	;; [unrolled: 1-line block ×4, first 2 shown]
	.loc	1 34 16                         ; layer_norm_bwd.py:34:16
	v_cndmask_b32_e64 v41, v4, v18, s[26:27]
	v_lshlrev_b32_e32 v18, 1, v11
	.loc	1 23 18                         ; layer_norm_bwd.py:23:18
	v_cmp_gt_i32_e64 s[28:29], s31, v11
	.loc	1 36 16                         ; layer_norm_bwd.py:36:16
	s_and_b32 s13, s13, 0xffff
	s_mov_b32 s14, s42
	.loc	1 34 16                         ; layer_norm_bwd.py:34:16
	v_cndmask_b32_e64 v42, v4, v18, s[28:29]
	buffer_load_ushort v43, v41, s[40:43], 0 offen
	buffer_load_ushort v44, v42, s[40:43], 0 offen
	.loc	1 35 17                         ; layer_norm_bwd.py:35:17
	buffer_load_ushort v45, v41, s[36:39], 0 offen
	buffer_load_ushort v46, v42, s[36:39], 0 offen
	.loc	1 36 16                         ; layer_norm_bwd.py:36:16
	s_mov_b32 s15, s43
	v_lshlrev_b32_e32 v8, 2, v8
	v_lshlrev_b32_e32 v2, 2, v2
	v_cndmask_b32_e64 v36, v4, v8, s[22:23]
	v_cndmask_b32_e64 v37, v4, v2, s[24:25]
	buffer_load_dword v18, v32, s[12:15], 0 offen
	buffer_load_dword v19, v33, s[12:15], 0 offen
	;; [unrolled: 1-line block ×6, first 2 shown]
	v_lshlrev_b32_e32 v1, 2, v1
	v_cndmask_b32_e64 v38, v4, v1, s[26:27]
	v_lshlrev_b32_e32 v1, 2, v11
	v_cndmask_b32_e64 v39, v4, v1, s[28:29]
	buffer_load_dword v24, v38, s[12:15], 0 offen
	buffer_load_dword v25, v39, s[12:15], 0 offen
	s_load_dwordx2 s[12:13], s[0:1], 0x38
	.loc	1 37 26                         ; layer_norm_bwd.py:37:26
	s_ashr_i32 s17, s16, 31
	s_lshl_b64 s[14:15], s[16:17], 2
	s_add_u32 s18, s18, s14
	s_addc_u32 s19, s19, s15
	.loc	1 38 26                         ; layer_norm_bwd.py:38:26
	s_waitcnt lgkmcnt(0)
	s_add_u32 s12, s12, s14
	.loc	1 37 19                         ; layer_norm_bwd.py:37:19
	s_load_dword s18, s[18:19], 0x0
	.loc	1 38 26                         ; layer_norm_bwd.py:38:26
	s_addc_u32 s13, s13, s15
	.loc	1 38 19 is_stmt 0               ; layer_norm_bwd.py:38:19
	s_load_dword s12, s[12:13], 0x0
	.loc	1 34 49 is_stmt 1               ; layer_norm_bwd.py:34:49
	s_waitcnt vmcnt(23)
	v_cvt_f32_f16_e32 v4, v3
	s_waitcnt vmcnt(22)
	v_cvt_f32_f16_e32 v5, v5
	.loc	1 35 51                         ; layer_norm_bwd.py:35:51
	s_waitcnt vmcnt(21)
	v_cvt_f32_f16_e32 v2, v6
	s_waitcnt vmcnt(20)
	v_cvt_f32_f16_e32 v3, v7
	.loc	1 40 16                         ; layer_norm_bwd.py:40:16
	s_waitcnt lgkmcnt(0)
	v_pk_add_f32 v[4:5], v[4:5], s[18:19] op_sel_hi:[1,0] neg_lo:[0,1] neg_hi:[0,1]
	.loc	1 40 24 is_stmt 0               ; layer_norm_bwd.py:40:24
	s_nop 0
	v_pk_mul_f32 v[4:5], v[4:5], s[12:13] op_sel_hi:[1,0]
	.loc	1 34 49 is_stmt 1               ; layer_norm_bwd.py:34:49
	s_waitcnt vmcnt(19)
	v_cvt_f32_f16_e32 v6, v9
	s_waitcnt vmcnt(18)
	v_cvt_f32_f16_e32 v7, v10
	;; [unrolled: 2-line block ×4, first 2 shown]
	.loc	1 42 32                         ; layer_norm_bwd.py:42:32
	v_cndmask_b32_e64 v11, 0, v5, s[4:5]
	v_cndmask_b32_e32 v10, 0, v4, vcc
	.loc	1 35 51                         ; layer_norm_bwd.py:35:51
	s_waitcnt vmcnt(15)
	v_cvt_f32_f16_e32 v5, v13
	s_waitcnt vmcnt(14)
	v_cvt_f32_f16_e32 v4, v15
	.loc	1 40 16                         ; layer_norm_bwd.py:40:16
	v_pk_add_f32 v[6:7], v[6:7], s[18:19] op_sel_hi:[1,0] neg_lo:[0,1] neg_hi:[0,1]
	v_pk_add_f32 v[8:9], v[8:9], s[18:19] op_sel_hi:[1,0] neg_lo:[0,1] neg_hi:[0,1]
	.loc	1 40 24 is_stmt 0               ; layer_norm_bwd.py:40:24
	v_pk_mul_f32 v[6:7], v[6:7], s[12:13] op_sel_hi:[1,0]
	v_pk_mul_f32 v[8:9], v[8:9], s[12:13] op_sel_hi:[1,0]
	.loc	1 42 32 is_stmt 1               ; layer_norm_bwd.py:42:32
	v_cndmask_b32_e64 v13, 0, v7, s[20:21]
	v_cndmask_b32_e64 v12, 0, v6, s[10:11]
	.loc	1 35 51                         ; layer_norm_bwd.py:35:51
	s_waitcnt vmcnt(12)
	v_cvt_f32_f16_e32 v7, v17
	v_cvt_f32_f16_e32 v6, v16
	.loc	1 34 49                         ; layer_norm_bwd.py:34:49
	s_waitcnt vmcnt(10)
	v_cvt_f32_f16_e32 v17, v44
	v_cvt_f32_f16_e32 v16, v43
	.loc	1 41 14                         ; layer_norm_bwd.py:41:14
	s_waitcnt vmcnt(6)
	v_pk_mul_f32 v[18:19], v[18:19], v[2:3]
	.loc	1 42 32                         ; layer_norm_bwd.py:42:32
	v_cndmask_b32_e64 v15, 0, v9, s[24:25]
	v_cndmask_b32_e64 v14, 0, v8, s[22:23]
	.loc	1 35 51                         ; layer_norm_bwd.py:35:51
	v_cvt_f32_f16_e32 v9, v46
	v_cvt_f32_f16_e32 v8, v45
	.loc	1 43 30                         ; layer_norm_bwd.py:43:30
	v_cndmask_b32_e64 v19, 0, v19, s[4:5]
	v_cndmask_b32_e32 v18, 0, v18, vcc
	.loc	1 41 14                         ; layer_norm_bwd.py:41:14
	s_waitcnt vmcnt(4)
	v_pk_mul_f32 v[20:21], v[20:21], v[4:5]
	.loc	1 44 23                         ; layer_norm_bwd.py:44:23
	v_pk_mul_f32 v[44:45], v[18:19], v[10:11]
	.loc	1 43 30                         ; layer_norm_bwd.py:43:30
	v_cndmask_b32_e64 v21, 0, v21, s[20:21]
	v_cndmask_b32_e64 v20, 0, v20, s[10:11]
	.loc	1 41 14                         ; layer_norm_bwd.py:41:14
	s_waitcnt vmcnt(2)
	v_pk_mul_f32 v[22:23], v[22:23], v[6:7]
	.loc	1 44 23                         ; layer_norm_bwd.py:44:23
	v_pk_mul_f32 v[46:47], v[20:21], v[12:13]
.Ltmp2:
	.file	2 "/root/.local/lib/python3.13/site-packages/triton/language" "standard.py"
	.loc	2 263 15                        ; standard.py:263:15 @[ standard.py:293:36 @[ layer_norm_bwd.py:44:16 ] ]
	v_add_f32_e32 v1, v44, v45
.Ltmp3:
	.loc	1 40 16                         ; layer_norm_bwd.py:40:16
	v_pk_add_f32 v[16:17], v[16:17], s[18:19] op_sel_hi:[1,0] neg_lo:[0,1] neg_hi:[0,1]
	.loc	1 43 30                         ; layer_norm_bwd.py:43:30
	v_cndmask_b32_e64 v23, 0, v23, s[24:25]
	v_cndmask_b32_e64 v22, 0, v22, s[22:23]
.Ltmp4:
	.loc	2 263 15                        ; standard.py:263:15 @[ standard.py:293:36 @[ layer_norm_bwd.py:44:16 ] ]
	v_add_f32_e32 v1, v46, v1
.Ltmp5:
	.loc	1 40 24                         ; layer_norm_bwd.py:40:24
	v_pk_mul_f32 v[16:17], v[16:17], s[12:13] op_sel_hi:[1,0]
	.loc	1 41 14                         ; layer_norm_bwd.py:41:14
	s_waitcnt vmcnt(0)
	v_pk_mul_f32 v[24:25], v[24:25], v[8:9]
	.loc	1 44 23                         ; layer_norm_bwd.py:44:23
	v_pk_mul_f32 v[48:49], v[22:23], v[14:15]
.Ltmp6:
	.loc	2 263 15                        ; standard.py:263:15 @[ standard.py:293:36 @[ layer_norm_bwd.py:44:16 ] ]
	v_add_f32_e32 v1, v47, v1
.Ltmp7:
	.loc	1 42 32                         ; layer_norm_bwd.py:42:32
	v_cndmask_b32_e64 v17, 0, v17, s[28:29]
	v_cndmask_b32_e64 v16, 0, v16, s[26:27]
	.loc	1 43 30                         ; layer_norm_bwd.py:43:30
	v_cndmask_b32_e64 v25, 0, v25, s[28:29]
	v_cndmask_b32_e64 v24, 0, v24, s[26:27]
.Ltmp8:
	.loc	2 263 15                        ; standard.py:263:15 @[ standard.py:293:36 @[ layer_norm_bwd.py:44:16 ] ]
	v_add_f32_e32 v1, v48, v1
.Ltmp9:
	.loc	1 44 23                         ; layer_norm_bwd.py:44:23
	v_pk_mul_f32 v[50:51], v[24:25], v[16:17]
.Ltmp10:
	.loc	2 263 15                        ; standard.py:263:15 @[ standard.py:293:36 @[ layer_norm_bwd.py:44:16 ] ]
	v_add_f32_e32 v1, v49, v1
	v_add_f32_e32 v1, v50, v1
	;; [unrolled: 1-line block ×3, first 2 shown]
.Ltmp11:
	.loc	2 293 36                        ; standard.py:293:36 @[ layer_norm_bwd.py:44:16 ]
	s_lshr_b32 s4, s33, 4
	s_and_b32 s4, s4, 12
.Ltmp12:
	.loc	2 263 15                        ; standard.py:263:15 @[ standard.py:293:36 @[ layer_norm_bwd.py:44:16 ] ]
	v_add_f32_dpp v1, v1, v1 row_shr:8 row_mask:0xf bank_mask:0xf bound_ctrl:1
.Ltmp13:
	.loc	2 293 36                        ; standard.py:293:36 @[ layer_norm_bwd.py:44:16 ]
	v_cmp_eq_u32_e32 vcc, 0, v26
	s_add_i32 s13, s4, 0
.Ltmp14:
	.loc	2 263 15                        ; standard.py:263:15 @[ standard.py:293:36 @[ layer_norm_bwd.py:44:16 ] ]
	v_add_f32_dpp v1, v1, v1 row_shr:4 row_mask:0xf bank_mask:0xf bound_ctrl:1
	s_nop 1
	v_add_f32_dpp v1, v1, v1 row_shr:2 row_mask:0xf bank_mask:0xf bound_ctrl:1
	s_nop 1
	v_add_f32_dpp v1, v1, v1 row_shr:1 row_mask:0xf bank_mask:0xf bound_ctrl:1
.Ltmp15:
	.loc	2 293 36                        ; standard.py:293:36 @[ layer_norm_bwd.py:44:16 ]
	v_mov_b32_e32 v43, v1
	s_nop 1
	v_mov_b32_dpp v43, v43 row_bcast:15 row_mask:0xa bank_mask:0xf bound_ctrl:1
.Ltmp16:
	.loc	2 263 15                        ; standard.py:263:15 @[ standard.py:293:36 @[ layer_norm_bwd.py:44:16 ] ]
	v_add_f32_e32 v1, v43, v1
	s_nop 1
	v_add_f32_dpp v1, v1, v1 row_bcast:31 row_mask:0xf bank_mask:0xf bound_ctrl:1
.Ltmp17:
	.loc	2 293 36                        ; standard.py:293:36 @[ layer_norm_bwd.py:44:16 ]
	s_nop 0
	v_readlane_b32 s10, v1, 63
	s_and_saveexec_b64 s[4:5], vcc
; %bb.1:
	v_mov_b32_e32 v1, s13
	v_mov_b32_e32 v43, s10
	ds_write_b32 v1, v43
; %bb.2:
	.loc	2 0 36 is_stmt 0                ; standard.py:0:36
	s_or_b64 exec, exec, s[4:5]
	.loc	2 293 36                        ; standard.py:293:36 @[ layer_norm_bwd.py:44:16 ]
	v_cmp_gt_u32_e64 s[4:5], 4, v0
	v_lshl_add_u32 v1, v0, 2, 0
.Ltmp18:
	.loc	1 44 16 is_stmt 1               ; layer_norm_bwd.py:44:16
	v_mov_b32_e32 v43, 0
.Ltmp19:
	.loc	2 293 36                        ; standard.py:293:36 @[ layer_norm_bwd.py:44:16 ]
	s_waitcnt lgkmcnt(0)
	s_barrier
	s_and_saveexec_b64 s[10:11], s[4:5]
; %bb.3:
	ds_read_b32 v43, v1
; %bb.4:
	.loc	2 0 36 is_stmt 0                ; standard.py:0:36
	s_or_b64 exec, exec, s[10:11]
	.loc	2 293 36                        ; standard.py:293:36 @[ layer_norm_bwd.py:44:16 ]
	s_waitcnt lgkmcnt(0)
	v_mov_b32_e32 v44, v43
	v_and_b32_e32 v45, 3, v0
	v_cmp_eq_u32_e64 s[10:11], 0, v45
	v_mov_b32_dpp v44, v44 quad_perm:[2,3,0,1] row_mask:0xf bank_mask:0xf
.Ltmp20:
	.loc	2 263 15 is_stmt 1              ; standard.py:263:15 @[ standard.py:293:36 @[ layer_norm_bwd.py:44:16 ] ]
	v_add_f32_e32 v43, v43, v44
.Ltmp21:
	.loc	2 293 36                        ; standard.py:293:36 @[ layer_norm_bwd.py:44:16 ]
	v_mov_b32_e32 v44, v43
	s_and_b64 s[14:15], s[4:5], s[10:11]
	s_nop 0
	v_mov_b32_dpp v44, v44 quad_perm:[1,0,3,2] row_mask:0xf bank_mask:0xf
	s_and_saveexec_b64 s[10:11], s[14:15]
; %bb.5:
	.loc	2 0 36 is_stmt 0                ; standard.py:0:36
	v_add_f32_e32 v43, v43, v44
	.loc	2 293 36                        ; standard.py:293:36 @[ layer_norm_bwd.py:44:16 ]
	ds_write_b32 v1, v43
.Ltmp22:
; %bb.6:
	.loc	2 0 36                          ; standard.py:0:36
	s_or_b64 exec, exec, s[10:11]
.Ltmp23:
	.loc	2 263 15 is_stmt 1              ; standard.py:263:15 @[ standard.py:293:36 @[ layer_norm_bwd.py:45:16 ] ]
	v_add_f32_e32 v44, v18, v19
	v_add_f32_e32 v44, v44, v20
	;; [unrolled: 1-line block ×7, first 2 shown]
.Ltmp24:
	.loc	2 293 36                        ; standard.py:293:36 @[ layer_norm_bwd.py:44:16 ]
	v_mov_b32_e32 v43, 0
	s_waitcnt lgkmcnt(0)
.Ltmp25:
	.loc	2 263 15                        ; standard.py:263:15 @[ standard.py:293:36 @[ layer_norm_bwd.py:45:16 ] ]
	v_add_f32_dpp v44, v44, v44 row_shr:8 row_mask:0xf bank_mask:0xf bound_ctrl:1
.Ltmp26:
	.loc	2 293 36                        ; standard.py:293:36 @[ layer_norm_bwd.py:44:16 ]
	s_barrier
	ds_read_b32 v43, v43
.Ltmp27:
	.loc	2 263 15                        ; standard.py:263:15 @[ standard.py:293:36 @[ layer_norm_bwd.py:45:16 ] ]
	v_add_f32_dpp v44, v44, v44 row_shr:4 row_mask:0xf bank_mask:0xf bound_ctrl:1
.Ltmp28:
	.loc	2 293 36                        ; standard.py:293:36 @[ layer_norm_bwd.py:45:16 ]
	s_waitcnt lgkmcnt(0)
	s_barrier
.Ltmp29:
	.loc	2 263 15                        ; standard.py:263:15 @[ standard.py:293:36 @[ layer_norm_bwd.py:45:16 ] ]
	v_add_f32_dpp v44, v44, v44 row_shr:2 row_mask:0xf bank_mask:0xf bound_ctrl:1
	s_nop 1
	v_add_f32_dpp v44, v44, v44 row_shr:1 row_mask:0xf bank_mask:0xf bound_ctrl:1
.Ltmp30:
	.loc	2 293 36                        ; standard.py:293:36 @[ layer_norm_bwd.py:45:16 ]
	v_mov_b32_e32 v45, v44
	s_nop 1
	v_mov_b32_dpp v45, v45 row_bcast:15 row_mask:0xa bank_mask:0xf bound_ctrl:1
.Ltmp31:
	.loc	2 263 15                        ; standard.py:263:15 @[ standard.py:293:36 @[ layer_norm_bwd.py:45:16 ] ]
	v_add_f32_e32 v44, v44, v45
	s_nop 1
	v_add_f32_dpp v44, v44, v44 row_bcast:31 row_mask:0xf bank_mask:0xf bound_ctrl:1
.Ltmp32:
	.loc	2 293 36                        ; standard.py:293:36 @[ layer_norm_bwd.py:45:16 ]
	s_nop 0
	v_readlane_b32 s18, v44, 63
	s_and_saveexec_b64 s[10:11], vcc
; %bb.7:
	v_mov_b32_e32 v44, s13
	v_mov_b32_e32 v45, s18
	ds_write_b32 v44, v45
.Ltmp33:
; %bb.8:
	.loc	2 0 36 is_stmt 0                ; standard.py:0:36
	s_or_b64 exec, exec, s[10:11]
	s_load_dwordx2 s[10:11], s[0:1], 0x40
	.loc	1 45 16 is_stmt 1               ; layer_norm_bwd.py:45:16
	v_mov_b32_e32 v44, 0
.Ltmp34:
	.loc	2 293 36                        ; standard.py:293:36 @[ layer_norm_bwd.py:45:16 ]
	s_waitcnt lgkmcnt(0)
	s_barrier
	s_and_saveexec_b64 s[0:1], s[4:5]
; %bb.9:
	ds_read_b32 v44, v1
; %bb.10:
	.loc	2 0 36 is_stmt 0                ; standard.py:0:36
	s_or_b64 exec, exec, s[0:1]
	.loc	2 293 36                        ; standard.py:293:36 @[ layer_norm_bwd.py:45:16 ]
	s_waitcnt lgkmcnt(0)
	v_mov_b32_e32 v45, v44
.Ltmp35:
	.loc	1 0 0                           ; layer_norm_bwd.py:0
	s_mov_b32 s13, s12
.Ltmp36:
	.loc	2 293 36                        ; standard.py:293:36 @[ layer_norm_bwd.py:45:16 ]
	s_nop 0
	v_mov_b32_dpp v45, v45 quad_perm:[2,3,0,1] row_mask:0xf bank_mask:0xf
.Ltmp37:
	.loc	2 263 15 is_stmt 1              ; standard.py:263:15 @[ standard.py:293:36 @[ layer_norm_bwd.py:45:16 ] ]
	v_add_f32_e32 v44, v44, v45
.Ltmp38:
	.loc	2 293 36                        ; standard.py:293:36 @[ layer_norm_bwd.py:45:16 ]
	v_mov_b32_e32 v45, v44
	s_nop 1
	v_mov_b32_dpp v45, v45 quad_perm:[1,0,3,2] row_mask:0xf bank_mask:0xf
	s_and_saveexec_b64 s[0:1], s[14:15]
; %bb.11:
	.loc	2 0 36 is_stmt 0                ; standard.py:0:36
	v_add_f32_e32 v44, v44, v45
	.loc	2 293 36                        ; standard.py:293:36 @[ layer_norm_bwd.py:45:16 ]
	ds_write_b32 v1, v44
.Ltmp39:
; %bb.12:
	.loc	2 0 36                          ; standard.py:0:36
	s_or_b64 exec, exec, s[0:1]
	.loc	1 44 38 is_stmt 1               ; layer_norm_bwd.py:44:38
	v_cvt_f32_i32_e32 v45, s31
	.loc	1 0 0 is_stmt 0                 ; layer_norm_bwd.py:0
	s_lshr_b32 s14, s33, 6
.Ltmp40:
	.loc	2 293 36 is_stmt 1              ; standard.py:293:36 @[ layer_norm_bwd.py:45:16 ]
	s_waitcnt lgkmcnt(0)
	s_barrier
.Ltmp41:
	.loc	1 44 38                         ; layer_norm_bwd.py:44:38
	v_div_scale_f32 v1, s[0:1], v45, v45, v43
	v_rcp_f32_e32 v44, v1
	v_div_scale_f32 v46, vcc, v43, v45, v43
	.loc	1 26 10                         ; layer_norm_bwd.py:26:10
	s_add_u32 s0, s2, s34
	.loc	1 44 38                         ; layer_norm_bwd.py:44:38
	v_fma_f32 v47, -v1, v44, 1.0
	v_fmac_f32_e32 v44, v47, v44
	v_mul_f32_e32 v47, v46, v44
	v_fma_f32 v48, -v1, v47, v46
	v_fmac_f32_e32 v47, v48, v44
	v_fma_f32 v1, -v1, v47, v46
	v_div_fmas_f32 v1, v1, v44, v47
	v_div_fixup_f32 v44, v1, v45, v43
.Ltmp42:
	.loc	2 293 36                        ; standard.py:293:36 @[ layer_norm_bwd.py:45:16 ]
	v_mov_b32_e32 v1, 0
	ds_read_b32 v43, v1
.Ltmp43:
	.loc	1 26 10                         ; layer_norm_bwd.py:26:10
	s_addc_u32 s1, s3, s35
	.loc	1 28 20                         ; layer_norm_bwd.py:28:20
	s_lshr_b32 s2, s17, 26
	s_add_i32 s2, s16, s2
	s_andn2_b32 s2, s2, 63
	s_sub_i32 s4, s16, s2
	.loc	1 45 31                         ; layer_norm_bwd.py:45:31
	s_waitcnt lgkmcnt(0)
	v_div_scale_f32 v46, s[2:3], v45, v45, v43
	v_rcp_f32_e32 v47, v46
	.loc	1 29 12                         ; layer_norm_bwd.py:29:12
	s_ashr_i32 s5, s4, 31
	s_lshl_b64 s[2:3], s[4:5], 2
	s_add_u32 s10, s10, s2
	.loc	1 45 31                         ; layer_norm_bwd.py:45:31
	v_fma_f32 v48, -v46, v47, 1.0
	v_fmac_f32_e32 v47, v48, v47
	v_div_scale_f32 v48, vcc, v43, v45, v43
	v_mul_f32_e32 v49, v48, v47
	v_fma_f32 v50, -v46, v49, v48
	v_fmac_f32_e32 v49, v50, v47
	v_fma_f32 v46, -v46, v49, v48
	v_div_fmas_f32 v46, v46, v47, v49
	v_div_fixup_f32 v46, v46, v45, v43
	.loc	1 46 29                         ; layer_norm_bwd.py:46:29
	v_pk_fma_f32 v[48:49], v[10:11], v[44:45], v[46:47] op_sel_hi:[1,0,0]
	.loc	1 29 12                         ; layer_norm_bwd.py:29:12
	s_addc_u32 s11, s11, s3
	.loc	1 46 17                         ; layer_norm_bwd.py:46:17
	v_pk_add_f32 v[18:19], v[18:19], v[48:49] neg_lo:[0,1] neg_hi:[0,1]
	.loc	1 46 29 is_stmt 0               ; layer_norm_bwd.py:46:29
	v_pk_fma_f32 v[48:49], v[12:13], v[44:45], v[46:47] op_sel_hi:[1,0,0]
	.loc	1 46 36                         ; layer_norm_bwd.py:46:36
	v_pk_mul_f32 v[18:19], s[12:13], v[18:19]
	.loc	1 46 17                         ; layer_norm_bwd.py:46:17
	v_pk_add_f32 v[20:21], v[20:21], v[48:49] neg_lo:[0,1] neg_hi:[0,1]
	.loc	1 46 29                         ; layer_norm_bwd.py:46:29
	v_pk_fma_f32 v[48:49], v[14:15], v[44:45], v[46:47] op_sel_hi:[1,0,0]
	.loc	1 46 36                         ; layer_norm_bwd.py:46:36
	v_pk_mul_f32 v[20:21], s[12:13], v[20:21]
	.loc	1 46 17                         ; layer_norm_bwd.py:46:17
	v_pk_add_f32 v[22:23], v[22:23], v[48:49] neg_lo:[0,1] neg_hi:[0,1]
	.loc	1 46 29                         ; layer_norm_bwd.py:46:29
	v_pk_fma_f32 v[44:45], v[16:17], v[44:45], v[46:47] op_sel_hi:[1,0,0]
	.loc	1 48 24 is_stmt 1               ; layer_norm_bwd.py:48:24
	v_cvt_pk_f16_f32 v18, v18, v19
	s_and_b32 s1, s1, 0xffff
	s_mov_b32 s3, 0x27000
	s_mov_b32 s2, 0x7ffffffe
	.loc	1 46 36                         ; layer_norm_bwd.py:46:36
	v_pk_mul_f32 v[22:23], s[12:13], v[22:23]
	.loc	1 46 17 is_stmt 0               ; layer_norm_bwd.py:46:17
	v_pk_add_f32 v[24:25], v[24:25], v[44:45] neg_lo:[0,1] neg_hi:[0,1]
	.loc	1 48 24 is_stmt 1               ; layer_norm_bwd.py:48:24
	v_cvt_pk_f16_f32 v19, v20, v21
	buffer_store_short v18, v27, s[0:3], 0 offen
	v_lshrrev_b32_e32 v18, 16, v18
	.loc	1 46 36                         ; layer_norm_bwd.py:46:36
	v_pk_mul_f32 v[24:25], s[12:13], v[24:25]
	.loc	1 48 24                         ; layer_norm_bwd.py:48:24
	v_cvt_pk_f16_f32 v20, v22, v23
	buffer_store_short v18, v28, s[0:3], 0 offen
	buffer_store_short v19, v29, s[0:3], 0 offen
	v_lshrrev_b32_e32 v18, 16, v19
	v_cvt_pk_f16_f32 v21, v24, v25
	buffer_store_short v18, v30, s[0:3], 0 offen
	buffer_store_short v20, v31, s[0:3], 0 offen
	v_lshrrev_b32_e32 v18, 16, v20
	buffer_store_short v18, v40, s[0:3], 0 offen
	buffer_store_short v21, v41, s[0:3], 0 offen
	v_lshrrev_b32_e32 v18, 16, v21
	buffer_store_short v18, v42, s[0:3], 0 offen
	v_cmp_eq_u32_e64 s[0:1], 0, v0
	v_mov_b32_e32 v0, 1
	s_branch .LBB0_14
.LBB0_13:                               ;   in Loop: Header=BB0_14 Depth=1
	.loc	1 0 24 is_stmt 0                ; layer_norm_bwd.py:0:24
	s_or_b64 exec, exec, s[2:3]
	.loc	1 52 33 is_stmt 1               ; layer_norm_bwd.py:52:33
	s_waitcnt lgkmcnt(0)
	s_barrier
	ds_read_b32 v18, v1
	.loc	1 52 39 is_stmt 0               ; layer_norm_bwd.py:52:39
	s_waitcnt lgkmcnt(0)
	v_cmp_eq_u32_e32 vcc, 1, v18
	s_cbranch_vccz .LBB0_16
.LBB0_14:                               ; =>This Inner Loop Header: Depth=1
	.loc	1 52 33 is_stmt 1               ; layer_norm_bwd.py:52:33
	s_waitcnt lgkmcnt(0)
	s_barrier
	s_and_saveexec_b64 s[2:3], s[0:1]
	s_cbranch_execz .LBB0_13
; %bb.15:                               ;   in Loop: Header=BB0_14 Depth=1
	buffer_wbl2 sc1
	s_waitcnt vmcnt(0)
	global_atomic_cmpswap v18, v1, v[0:1], s[10:11] sc0
	s_waitcnt vmcnt(0)
	buffer_inv sc1
	ds_write_b32 v1, v18
	s_branch .LBB0_13
.LBB0_16:
	.loc	1 54 20                         ; layer_norm_bwd.py:54:20
	v_mov_b32_e32 v0, 0
	global_load_dword v18, v0, s[10:11] offset:256
	.loc	1 31 24                         ; layer_norm_bwd.py:31:24
	s_mul_i32 s0, s31, s4
	.loc	1 31 14 is_stmt 0               ; layer_norm_bwd.py:31:14
	s_ashr_i32 s1, s0, 31
	s_lshl_b64 s[0:1], s[0:1], 2
	s_add_u32 s4, s6, s0
	s_addc_u32 s13, s7, s1
	.loc	1 32 14 is_stmt 1               ; layer_norm_bwd.py:32:14
	s_add_u32 s0, s8, s0
	v_or_b32_e32 v40, s14, v26
	.loc	1 50 23                         ; layer_norm_bwd.py:50:23
	v_pk_mul_f32 v[0:1], v[10:11], v[2:3]
	v_pk_mul_f32 v[10:11], v[12:13], v[4:5]
	;; [unrolled: 1-line block ×4, first 2 shown]
	.loc	1 32 14                         ; layer_norm_bwd.py:32:14
	s_addc_u32 s12, s9, s1
	v_cmp_eq_u32_e64 s[8:9], 0, v40
	.loc	1 56 16                         ; layer_norm_bwd.py:56:16
	s_waitcnt vmcnt(0)
	v_cmp_ne_u32_e32 vcc, 0, v18
	.loc	1 56 7 is_stmt 0                ; layer_norm_bwd.py:56:7
	s_cbranch_vccz .LBB0_18
; %bb.17:
	.loc	1 0 7                           ; layer_norm_bwd.py:0:7
	s_mov_b32 s7, 0x27000
	s_mov_b32 s6, 0x7ffffffe
	.loc	1 59 30 is_stmt 1               ; layer_norm_bwd.py:59:30
	s_and_b32 s5, s13, 0xffff
	.loc	1 60 30                         ; layer_norm_bwd.py:60:30
	s_and_b32 s1, s12, 0xffff
	s_mov_b32 s2, s6
	s_mov_b32 s3, s7
	.loc	1 59 30                         ; layer_norm_bwd.py:59:30
	buffer_load_dword v16, v32, s[4:7], 0 offen
	buffer_load_dword v17, v33, s[4:7], 0 offen
	;; [unrolled: 1-line block ×8, first 2 shown]
	.loc	1 60 30                         ; layer_norm_bwd.py:60:30
	buffer_load_dword v24, v32, s[0:3], 0 offen
	buffer_load_dword v25, v33, s[0:3], 0 offen
	;; [unrolled: 1-line block ×8, first 2 shown]
	.loc	1 59 22                         ; layer_norm_bwd.py:59:22
	s_waitcnt vmcnt(14)
	v_pk_add_f32 v[30:31], v[0:1], v[16:17]
	.loc	1 60 22                         ; layer_norm_bwd.py:60:22
	s_waitcnt vmcnt(6)
	v_pk_add_f32 v[16:17], v[24:25], v[2:3]
	.loc	1 59 22                         ; layer_norm_bwd.py:59:22
	v_pk_add_f32 v[28:29], v[10:11], v[18:19]
	.loc	1 60 22                         ; layer_norm_bwd.py:60:22
	s_waitcnt vmcnt(4)
	v_pk_add_f32 v[18:19], v[42:43], v[4:5]
	.loc	1 59 22                         ; layer_norm_bwd.py:59:22
	;; [unrolled: 5-line block ×3, first 2 shown]
	v_pk_add_f32 v[22:23], v[14:15], v[22:23]
	.loc	1 60 22                         ; layer_norm_bwd.py:60:22
	s_waitcnt vmcnt(0)
	v_pk_add_f32 v[24:25], v[46:47], v[8:9]
	s_cbranch_execz .LBB0_19
	s_branch .LBB0_22
.LBB0_18:
                                        ; implicit-def: $sgpr8_sgpr9
                                        ; implicit-def: $vgpr22_vgpr23
                                        ; implicit-def: $vgpr26_vgpr27
                                        ; implicit-def: $vgpr28_vgpr29
                                        ; implicit-def: $vgpr30_vgpr31
                                        ; implicit-def: $vgpr24_vgpr25
                                        ; implicit-def: $vgpr20_vgpr21
                                        ; implicit-def: $vgpr18_vgpr19
                                        ; implicit-def: $vgpr16_vgpr17
.LBB0_19:
	.loc	1 57 30                         ; layer_norm_bwd.py:57:30
	v_cmp_eq_u32_e32 vcc, 0, v40
	s_mov_b64 s[8:9], 0
	.loc	1 30 19                         ; layer_norm_bwd.py:30:19
	s_and_saveexec_b64 s[2:3], vcc
	s_cbranch_execz .LBB0_21
; %bb.20:
	v_mov_b32_e32 v16, 0
	v_mov_b32_e32 v17, 1
	buffer_wbl2 sc1
	global_atomic_swap v16, v17, s[10:11] offset:256
	s_waitcnt vmcnt(0)
	buffer_inv sc1
	s_mov_b64 s[8:9], exec
.LBB0_21:                               ; %Flow
	.loc	1 0 19 is_stmt 0                ; layer_norm_bwd.py:0:19
	s_or_b64 exec, exec, s[2:3]
	v_mov_b64_e32 v[16:17], v[2:3]
	v_mov_b64_e32 v[18:19], v[4:5]
	v_mov_b64_e32 v[20:21], v[6:7]
	v_mov_b64_e32 v[24:25], v[8:9]
	v_mov_b64_e32 v[30:31], v[0:1]
	v_mov_b64_e32 v[28:29], v[10:11]
	v_mov_b64_e32 v[26:27], v[12:13]
	v_mov_b64_e32 v[22:23], v[14:15]
.LBB0_22:
	s_mov_b32 s7, 0x27000
	s_mov_b32 s6, 0x7ffffffe
	.loc	1 61 17 is_stmt 1               ; layer_norm_bwd.py:61:17
	s_and_b32 s5, s13, 0xffff
	.loc	1 62 17                         ; layer_norm_bwd.py:62:17
	s_and_b32 s1, s12, 0xffff
	s_mov_b32 s2, s6
	s_mov_b32 s3, s7
	.loc	1 61 17                         ; layer_norm_bwd.py:61:17
	buffer_store_dword v30, v32, s[4:7], 0 offen
	buffer_store_dword v31, v33, s[4:7], 0 offen
	;; [unrolled: 1-line block ×8, first 2 shown]
	.loc	1 62 17                         ; layer_norm_bwd.py:62:17
	buffer_store_dword v16, v32, s[0:3], 0 offen
	buffer_store_dword v17, v33, s[0:3], 0 offen
	;; [unrolled: 1-line block ×8, first 2 shown]
	.loc	1 66 4                          ; layer_norm_bwd.py:66:4
	s_barrier
	.loc	1 29 12                         ; layer_norm_bwd.py:29:12
	s_and_saveexec_b64 s[0:1], s[8:9]
	s_cbranch_execz .LBB0_24
; %bb.23:
	v_mov_b32_e32 v0, 0
	buffer_wbl2 sc1
	s_waitcnt vmcnt(0)
	global_atomic_swap v0, v0, s[10:11]
	s_waitcnt vmcnt(0)
	buffer_inv sc1
.LBB0_24:
	.loc	1 69 4                          ; layer_norm_bwd.py:69:4
	s_endpgm
.Ltmp44:
	.section	.rodata,"a",@progbits
	.p2align	6, 0x0
	.amdhsa_kernel _layer_norm_bwd_dx_fused
		.amdhsa_group_segment_fixed_size 0
		.amdhsa_private_segment_fixed_size 0
		.amdhsa_kernarg_size 96
		.amdhsa_user_sgpr_count 16
		.amdhsa_user_sgpr_dispatch_ptr 0
		.amdhsa_user_sgpr_queue_ptr 0
		.amdhsa_user_sgpr_kernarg_segment_ptr 1
		.amdhsa_user_sgpr_dispatch_id 0
		.amdhsa_user_sgpr_kernarg_preload_length 14
		.amdhsa_user_sgpr_kernarg_preload_offset 0
		.amdhsa_user_sgpr_private_segment_size 0
		.amdhsa_uses_dynamic_stack 0
		.amdhsa_enable_private_segment 0
		.amdhsa_system_sgpr_workgroup_id_x 1
		.amdhsa_system_sgpr_workgroup_id_y 0
		.amdhsa_system_sgpr_workgroup_id_z 0
		.amdhsa_system_sgpr_workgroup_info 0
		.amdhsa_system_vgpr_workitem_id 0
		.amdhsa_next_free_vgpr 52
		.amdhsa_next_free_sgpr 44
		.amdhsa_accum_offset 52
		.amdhsa_reserve_vcc 1
		.amdhsa_reserve_xnack_mask 1
		.amdhsa_float_round_mode_32 0
		.amdhsa_float_round_mode_16_64 0
		.amdhsa_float_denorm_mode_32 3
		.amdhsa_float_denorm_mode_16_64 3
		.amdhsa_dx10_clamp 1
		.amdhsa_ieee_mode 1
		.amdhsa_fp16_overflow 0
		.amdhsa_tg_split 0
		.amdhsa_exception_fp_ieee_invalid_op 0
		.amdhsa_exception_fp_denorm_src 0
		.amdhsa_exception_fp_ieee_div_zero 0
		.amdhsa_exception_fp_ieee_overflow 0
		.amdhsa_exception_fp_ieee_underflow 0
		.amdhsa_exception_fp_ieee_inexact 0
		.amdhsa_exception_int_div_zero 0
	.end_amdhsa_kernel
	.text
.Lfunc_end0:
	.size	_layer_norm_bwd_dx_fused, .Lfunc_end0-_layer_norm_bwd_dx_fused
	.cfi_endproc
                                        ; -- End function
	.set _layer_norm_bwd_dx_fused.num_vgpr, 52
	.set _layer_norm_bwd_dx_fused.num_agpr, 0
	.set _layer_norm_bwd_dx_fused.numbered_sgpr, 44
	.set _layer_norm_bwd_dx_fused.num_named_barrier, 0
	.set _layer_norm_bwd_dx_fused.private_seg_size, 0
	.set _layer_norm_bwd_dx_fused.uses_vcc, 1
	.set _layer_norm_bwd_dx_fused.uses_flat_scratch, 0
	.set _layer_norm_bwd_dx_fused.has_dyn_sized_stack, 0
	.set _layer_norm_bwd_dx_fused.has_recursion, 0
	.set _layer_norm_bwd_dx_fused.has_indirect_call, 0
	.section	.AMDGPU.csdata,"",@progbits
; Kernel info:
; codeLenInByte = 3060
; TotalNumSgprs: 50
; NumVgprs: 52
; NumAgprs: 0
; TotalNumVgprs: 52
; ScratchSize: 0
; MemoryBound: 0
; FloatMode: 240
; IeeeMode: 1
; LDSByteSize: 0 bytes/workgroup (compile time only)
; SGPRBlocks: 6
; VGPRBlocks: 6
; NumSGPRsForWavesPerEU: 50
; NumVGPRsForWavesPerEU: 52
; AccumOffset: 52
; Occupancy: 8
; WaveLimiterHint : 0
; COMPUTE_PGM_RSRC2:SCRATCH_EN: 0
; COMPUTE_PGM_RSRC2:USER_SGPR: 16
; COMPUTE_PGM_RSRC2:TRAP_HANDLER: 0
; COMPUTE_PGM_RSRC2:TGID_X_EN: 1
; COMPUTE_PGM_RSRC2:TGID_Y_EN: 0
; COMPUTE_PGM_RSRC2:TGID_Z_EN: 0
; COMPUTE_PGM_RSRC2:TIDIG_COMP_CNT: 0
; COMPUTE_PGM_RSRC3_GFX90A:ACCUM_OFFSET: 12
; COMPUTE_PGM_RSRC3_GFX90A:TG_SPLIT: 0
	.text
	.p2alignl 6, 3212836864
	.fill 256, 4, 3212836864
	.section	.AMDGPU.gpr_maximums,"",@progbits
	.set amdgpu.max_num_vgpr, 0
	.set amdgpu.max_num_agpr, 0
	.set amdgpu.max_num_sgpr, 0
	.set amdgpu.max_num_named_barrier, 0
	.text
	.section	.debug_abbrev,"",@progbits
	.byte	1                               ; Abbreviation Code
	.byte	17                              ; DW_TAG_compile_unit
	.byte	1                               ; DW_CHILDREN_yes
	.byte	37                              ; DW_AT_producer
	.byte	14                              ; DW_FORM_strp
	.byte	19                              ; DW_AT_language
	.byte	5                               ; DW_FORM_data2
	.byte	3                               ; DW_AT_name
	.byte	14                              ; DW_FORM_strp
	.byte	16                              ; DW_AT_stmt_list
	.byte	23                              ; DW_FORM_sec_offset
	.byte	27                              ; DW_AT_comp_dir
	.byte	14                              ; DW_FORM_strp
	.byte	17                              ; DW_AT_low_pc
	.byte	1                               ; DW_FORM_addr
	.byte	18                              ; DW_AT_high_pc
	.byte	6                               ; DW_FORM_data4
	.byte	0                               ; EOM(1)
	.byte	0                               ; EOM(2)
	.byte	2                               ; Abbreviation Code
	.byte	46                              ; DW_TAG_subprogram
	.byte	0                               ; DW_CHILDREN_no
	.byte	3                               ; DW_AT_name
	.byte	14                              ; DW_FORM_strp
	.byte	32                              ; DW_AT_inline
	.byte	11                              ; DW_FORM_data1
	.byte	0                               ; EOM(1)
	.byte	0                               ; EOM(2)
	.byte	3                               ; Abbreviation Code
	.byte	46                              ; DW_TAG_subprogram
	.byte	1                               ; DW_CHILDREN_yes
	.byte	17                              ; DW_AT_low_pc
	.byte	1                               ; DW_FORM_addr
	.byte	18                              ; DW_AT_high_pc
	.byte	6                               ; DW_FORM_data4
	.byte	49                              ; DW_AT_abstract_origin
	.byte	19                              ; DW_FORM_ref4
	.byte	0                               ; EOM(1)
	.byte	0                               ; EOM(2)
	.byte	4                               ; Abbreviation Code
	.byte	29                              ; DW_TAG_inlined_subroutine
	.byte	1                               ; DW_CHILDREN_yes
	.byte	49                              ; DW_AT_abstract_origin
	.byte	19                              ; DW_FORM_ref4
	.byte	85                              ; DW_AT_ranges
	.byte	23                              ; DW_FORM_sec_offset
	.byte	88                              ; DW_AT_call_file
	.byte	11                              ; DW_FORM_data1
	.byte	89                              ; DW_AT_call_line
	.byte	11                              ; DW_FORM_data1
	.byte	87                              ; DW_AT_call_column
	.byte	11                              ; DW_FORM_data1
	.byte	0                               ; EOM(1)
	.byte	0                               ; EOM(2)
	.byte	5                               ; Abbreviation Code
	.byte	29                              ; DW_TAG_inlined_subroutine
	.byte	0                               ; DW_CHILDREN_no
	.byte	49                              ; DW_AT_abstract_origin
	.byte	19                              ; DW_FORM_ref4
	.byte	85                              ; DW_AT_ranges
	.byte	23                              ; DW_FORM_sec_offset
	.byte	88                              ; DW_AT_call_file
	.byte	11                              ; DW_FORM_data1
	.byte	89                              ; DW_AT_call_line
	.byte	5                               ; DW_FORM_data2
	.byte	87                              ; DW_AT_call_column
	.byte	11                              ; DW_FORM_data1
	.byte	0                               ; EOM(1)
	.byte	0                               ; EOM(2)
	;; [unrolled: 1-line block ×3, first 2 shown]
	.section	.debug_info,"",@progbits
.Lcu_begin0:
	.long	.Ldebug_info_end0-.Ldebug_info_start0 ; Length of Unit
.Ldebug_info_start0:
	.short	4                               ; DWARF version number
	.long	.debug_abbrev                   ; Offset Into Abbrev. Section
	.byte	8                               ; Address Size (in bytes)
	.byte	1                               ; Abbrev [1] 0xb:0x6c DW_TAG_compile_unit
	.long	.Linfo_string0                  ; DW_AT_producer
	.short	2                               ; DW_AT_language
	.long	.Linfo_string1                  ; DW_AT_name
	.long	.Lline_table_start0             ; DW_AT_stmt_list
	.long	.Linfo_string2                  ; DW_AT_comp_dir
	.quad	.Lfunc_begin0                   ; DW_AT_low_pc
	.long	.Lfunc_end0-.Lfunc_begin0       ; DW_AT_high_pc
	.byte	2                               ; Abbrev [2] 0x2a:0x6 DW_TAG_subprogram
	.long	.Linfo_string3                  ; DW_AT_name
	.byte	1                               ; DW_AT_inline
	.byte	3                               ; Abbrev [3] 0x30:0x46 DW_TAG_subprogram
	.quad	.Lfunc_begin0                   ; DW_AT_low_pc
	.long	.Lfunc_end0-.Lfunc_begin0       ; DW_AT_high_pc
	.long	42                              ; DW_AT_abstract_origin
	.byte	4                               ; Abbrev [4] 0x41:0x1a DW_TAG_inlined_subroutine
	.long	42                              ; DW_AT_abstract_origin
	.long	.Ldebug_ranges0                 ; DW_AT_ranges
	.byte	1                               ; DW_AT_call_file
	.byte	44                              ; DW_AT_call_line
	.byte	16                              ; DW_AT_call_column
	.byte	5                               ; Abbrev [5] 0x4d:0xd DW_TAG_inlined_subroutine
	.long	42                              ; DW_AT_abstract_origin
	.long	.Ldebug_ranges1                 ; DW_AT_ranges
	.byte	2                               ; DW_AT_call_file
	.short	293                             ; DW_AT_call_line
	.byte	36                              ; DW_AT_call_column
	.byte	0                               ; End Of Children Mark
	.byte	4                               ; Abbrev [4] 0x5b:0x1a DW_TAG_inlined_subroutine
	.long	42                              ; DW_AT_abstract_origin
	.long	.Ldebug_ranges2                 ; DW_AT_ranges
	.byte	1                               ; DW_AT_call_file
	.byte	45                              ; DW_AT_call_line
	.byte	16                              ; DW_AT_call_column
	.byte	5                               ; Abbrev [5] 0x67:0xd DW_TAG_inlined_subroutine
	.long	42                              ; DW_AT_abstract_origin
	.long	.Ldebug_ranges3                 ; DW_AT_ranges
	.byte	2                               ; DW_AT_call_file
	.short	293                             ; DW_AT_call_line
	.byte	36                              ; DW_AT_call_column
	.byte	0                               ; End Of Children Mark
	.byte	0                               ; End Of Children Mark
	.byte	0                               ; End Of Children Mark
.Ldebug_info_end0:
	.section	.debug_ranges,"",@progbits
.Ldebug_ranges0:
	.quad	.Ltmp2-.Lfunc_begin0
	.quad	.Ltmp3-.Lfunc_begin0
	;; [unrolled: 1-line block ×16, first 2 shown]
	.quad	0
	.quad	0
.Ldebug_ranges1:
	.quad	.Ltmp2-.Lfunc_begin0
	.quad	.Ltmp3-.Lfunc_begin0
	;; [unrolled: 1-line block ×18, first 2 shown]
	.quad	0
	.quad	0
.Ldebug_ranges2:
	.quad	.Ltmp23-.Lfunc_begin0
	.quad	.Ltmp24-.Lfunc_begin0
	;; [unrolled: 1-line block ×14, first 2 shown]
	.quad	0
	.quad	0
.Ldebug_ranges3:
	.quad	.Ltmp23-.Lfunc_begin0
	.quad	.Ltmp24-.Lfunc_begin0
	;; [unrolled: 1-line block ×12, first 2 shown]
	.quad	0
	.quad	0
	.section	.debug_str,"MS",@progbits,1
.Linfo_string0:
	.asciz	"triton"                        ; string offset=0
.Linfo_string1:
	.asciz	"layer_norm_bwd.py"             ; string offset=7
.Linfo_string2:
	.asciz	"/root/src/amdgpu-assembly/repos/triton-lang__triton-aot" ; string offset=25
.Linfo_string3:
	.asciz	"_layer_norm_bwd_dx_fused"      ; string offset=81
	.section	".note.GNU-stack","",@progbits
	.amdgpu_metadata
---
amdhsa.kernels:
  - .agpr_count:     0
    .args:
      - .address_space:  global
        .offset:         0
        .size:           8
        .value_kind:     global_buffer
      - .address_space:  global
        .offset:         8
        .size:           8
        .value_kind:     global_buffer
      - .address_space:  global
        .offset:         16
        .size:           8
        .value_kind:     global_buffer
      - .address_space:  global
        .offset:         24
        .size:           8
        .value_kind:     global_buffer
      - .address_space:  global
        .offset:         32
        .size:           8
        .value_kind:     global_buffer
      - .address_space:  global
        .offset:         40
        .size:           8
        .value_kind:     global_buffer
      - .address_space:  global
        .offset:         48
        .size:           8
        .value_kind:     global_buffer
      - .address_space:  global
        .offset:         56
        .size:           8
        .value_kind:     global_buffer
      - .address_space:  global
        .offset:         64
        .size:           8
        .value_kind:     global_buffer
      - .offset:         72
        .size:           4
        .value_kind:     by_value
      - .offset:         76
        .size:           4
        .value_kind:     by_value
      - .address_space:  global
        .offset:         80
        .size:           8
        .value_kind:     global_buffer
      - .address_space:  global
        .offset:         88
        .size:           8
        .value_kind:     global_buffer
    .group_segment_fixed_size: 0
    .kernarg_segment_align: 8
    .kernarg_segment_size: 96
    .max_flat_workgroup_size: 256
    .name:           _layer_norm_bwd_dx_fused
    .private_segment_fixed_size: 0
    .sgpr_count:     50
    .sgpr_spill_count: 0
    .symbol:         _layer_norm_bwd_dx_fused.kd
    .uniform_work_group_size: 1
    .uses_dynamic_stack: false
    .vgpr_count:     52
    .vgpr_spill_count: 0
    .wavefront_size: 64
amdhsa.target:   amdgcn-amd-amdhsa--gfx950
amdhsa.version:
  - 1
  - 2
...

	.end_amdgpu_metadata
	.section	.debug_line,"",@progbits
.Lline_table_start0:
